;; amdgpu-corpus repo=linkedin/Liger-Kernel kind=triton arch=gfx950 opt=O3 lang=triton
	.amdgcn_target "amdgcn-amd-amdhsa--gfx950"
	.amdhsa_code_object_version 5
	.text
	.globl	_layer_norm_backward_kernel     ; -- Begin function _layer_norm_backward_kernel
	.p2align	8
	.type	_layer_norm_backward_kernel,@function
_layer_norm_backward_kernel:            ; @_layer_norm_backward_kernel
.Lfunc_begin0:
	.cfi_sections .debug_frame
	.cfi_startproc
; %bb.17:
	.file	1 "/root/src/amdgpu-assembly/repos/linkedin__Liger-Kernel/triton_aot_kernels" "layer_norm_aot.py"
	.loc	1 72 0 prologue_end             ; layer_norm_aot.py:72:0
	s_load_dwordx2 s[2:3], s[0:1], 0x0
	s_load_dwordx8 s[4:11], s[0:1], 0x8
	s_load_dwordx2 s[12:13], s[0:1], 0x28
	s_load_dword s14, s[0:1], 0x30
	s_waitcnt lgkmcnt(0)
	s_branch .LBB0_0
	.loc	1 0 0 is_stmt 0                 ; :0:0
.Ltmp0:
	.p2align	8
; %bb.18:
.LBB0_0:
	s_mov_b64 s[20:21], s[6:7]
	s_load_dwordx2 s[6:7], s[0:1], 0x74
	s_load_dwordx2 s[26:27], s[0:1], 0x48
	;; [unrolled: 1-line block ×3, first 2 shown]
.Ltmp1:
	.loc	1 101 24 is_stmt 1              ; layer_norm_aot.py:101:24
	v_and_b32_e32 v1, 63, v0
	.loc	1 108 16                        ; layer_norm_aot.py:108:16
	v_bfrev_b32_e32 v7, 1
	s_waitcnt lgkmcnt(0)
	s_ashr_i32 s17, s6, 31
	s_mov_b32 s16, s6
.Ltmp2:
	.file	2 "/root/.local/lib/python3.13/site-packages/triton/language" "standard.py"
	.loc	2 293 36                        ; standard.py:293:36 @[ layer_norm_aot.py:135:20 ]
	v_readfirstlane_b32 s6, v0
.Ltmp3:
	.loc	1 101 24                        ; layer_norm_aot.py:101:24
	s_and_b32 s5, s6, 0xc0
	v_or_b32_e32 v2, s5, v1
	v_or_b32_e32 v3, 0x100, v2
	.loc	1 108 16                        ; layer_norm_aot.py:108:16
	v_lshlrev_b32_e32 v6, 2, v2
	.loc	1 102 18                        ; layer_norm_aot.py:102:18
	v_cmp_gt_i32_e32 vcc, s7, v2
	.loc	1 101 24                        ; layer_norm_aot.py:101:24
	v_or_b32_e32 v4, 0x200, v2
	v_or_b32_e32 v5, 0x300, v2
	.loc	1 108 16                        ; layer_norm_aot.py:108:16
	v_cndmask_b32_e32 v15, v7, v6, vcc
	v_lshlrev_b32_e32 v2, 2, v3
	.loc	1 102 18                        ; layer_norm_aot.py:102:18
	v_cmp_gt_i32_e32 vcc, s7, v3
	s_mov_b32 s18, s15
	.loc	1 98 39                         ; layer_norm_aot.py:98:39
	s_ashr_i32 s19, s15, 31
	.loc	1 108 16                        ; layer_norm_aot.py:108:16
	v_cndmask_b32_e32 v20, v7, v2, vcc
	v_lshlrev_b32_e32 v2, 2, v4
	.loc	1 102 18                        ; layer_norm_aot.py:102:18
	v_cmp_gt_i32_e32 vcc, s7, v4
	.loc	1 99 31                         ; layer_norm_aot.py:99:31
	s_lshl_b64 s[28:29], s[18:19], 2
	v_mov_b32_e32 v23, 0
	.loc	1 108 16                        ; layer_norm_aot.py:108:16
	v_cndmask_b32_e32 v21, v7, v2, vcc
	v_lshlrev_b32_e32 v2, 2, v5
	.loc	1 102 18                        ; layer_norm_aot.py:102:18
	v_cmp_gt_i32_e32 vcc, s7, v5
	.loc	1 108 16                        ; layer_norm_aot.py:108:16
	s_nop 1
	v_cndmask_b32_e32 v22, v7, v2, vcc
	.loc	1 111 36                        ; layer_norm_aot.py:111:36
	v_mov_b64_e32 v[2:3], s[16:17]
	v_cmp_ge_i64_e32 vcc, s[28:29], v[2:3]
	s_cbranch_vccnz .LBB0_15
; %bb.1:                                ; %.lr.ph
	.loc	1 100 39                        ; layer_norm_aot.py:100:39
	s_add_u32 s22, s28, 4
	s_addc_u32 s23, s29, 0
	.loc	1 100 57 is_stmt 0              ; layer_norm_aot.py:100:57
	v_mov_b64_e32 v[2:3], s[16:17]
	v_cmp_lt_i64_e32 vcc, s[22:23], v[2:3]
	s_and_b64 s[30:31], vcc, exec
	s_cselect_b32 s45, s23, s17
	s_cselect_b32 s44, s22, s16
	.loc	1 108 16 is_stmt 1              ; layer_norm_aot.py:108:16
	s_and_b32 s21, s21, 0xffff
	s_mov_b32 s23, 0x27000
	s_mov_b32 s22, 0x7ffffffe
	buffer_load_dword v24, v15, s[20:23], 0 offen
	buffer_load_dword v25, v20, s[20:23], 0 offen
	;; [unrolled: 1-line block ×4, first 2 shown]
	s_lshr_b32 s6, s6, 4
	s_load_dword s20, s[0:1], 0x40
	s_load_dword s34, s[0:1], 0x70
	s_load_dwordx2 s[36:37], s[0:1], 0x38
	s_load_dwordx2 s[38:39], s[0:1], 0x68
	s_and_b32 s6, s6, 12
	.loc	1 134 43                        ; layer_norm_aot.py:134:43
	v_cvt_f32_i32_e32 v28, s7
	s_add_i32 s19, s6, 0
	v_cmp_gt_u32_e64 s[6:7], 4, v0
	v_lshl_add_u32 v29, v0, 2, 0
	v_and_b32_e32 v0, 3, v0
	v_cmp_eq_u32_e32 vcc, 0, v0
	.loc	1 111 36                        ; layer_norm_aot.py:111:36
	s_mul_hi_i32 s41, s18, s14
	s_mul_i32 s40, s18, s14
	.loc	1 113 38                        ; layer_norm_aot.py:113:38
	s_ashr_i32 s5, s4, 31
	.loc	1 114 40                        ; layer_norm_aot.py:114:40
	s_waitcnt lgkmcnt(0)
	s_ashr_i32 s21, s20, 31
	.loc	1 115 40                        ; layer_norm_aot.py:115:40
	s_ashr_i32 s35, s34, 31
	.loc	1 116 44                        ; layer_norm_aot.py:116:44
	;; [unrolled: 2-line block ×3, first 2 shown]
	s_ashr_i32 s15, s14, 31
	s_and_b64 s[30:31], s[6:7], vcc
	.loc	1 111 36                        ; layer_norm_aot.py:111:36
	s_lshl_b64 s[40:41], s[40:41], 4
	s_add_u32 s12, s12, s40
	s_addc_u32 s13, s13, s41
	s_mul_hi_i32 s41, s18, s10
	s_mul_i32 s40, s18, s10
	s_lshl_b64 s[14:15], s[14:15], 2
	s_lshl_b64 s[40:41], s[40:41], 4
	s_add_u32 s8, s8, s40
	s_addc_u32 s9, s9, s41
	s_mul_hi_i32 s41, s18, s34
	s_mul_i32 s40, s18, s34
	s_lshl_b64 s[10:11], s[10:11], 2
	;; [unrolled: 6-line block ×3, first 2 shown]
	s_lshl_b64 s[40:41], s[40:41], 4
	s_add_u32 s39, s36, s40
	s_addc_u32 s40, s37, s41
	s_lshl_b64 s[36:37], s[20:21], 2
	s_mul_hi_i32 s21, s18, s4
	s_mul_i32 s20, s18, s4
	s_lshl_b64 s[20:21], s[20:21], 4
	s_add_u32 s41, s2, s20
	v_mov_b32_e32 v0, 0
	v_cmp_eq_u32_e64 s[16:17], 0, v1
	s_addc_u32 s42, s3, s21
	s_lshl_b64 s[2:3], s[4:5], 2
	v_mov_b32_e32 v30, 0
	v_mov_b64_e32 v[8:9], s[44:45]
	v_mov_b32_e32 v1, v0
	v_mov_b32_e32 v2, v0
	;; [unrolled: 1-line block ×7, first 2 shown]
	s_branch .LBB0_3
.LBB0_2:                                ;   in Loop: Header=BB0_3 Depth=1
	.loc	1 0 36 is_stmt 0                ; layer_norm_aot.py:0:36
	s_or_b64 exec, exec, s[4:5]
	.loc	1 134 43 is_stmt 1              ; layer_norm_aot.py:134:43
	v_div_scale_f32 v36, s[4:5], v28, v28, v35
	v_rcp_f32_e32 v37, v36
.Ltmp4:
	.loc	2 293 36                        ; standard.py:293:36 @[ layer_norm_aot.py:135:20 ]
	s_waitcnt lgkmcnt(0)
	s_barrier
	ds_read_b32 v40, v30
.Ltmp5:
	.loc	1 134 43                        ; layer_norm_aot.py:134:43
	v_fma_f32 v39, -v36, v37, 1.0
	v_div_scale_f32 v38, vcc, v35, v28, v35
	v_fmac_f32_e32 v37, v39, v37
	v_mul_f32_e32 v39, v38, v37
	v_fma_f32 v41, -v36, v39, v38
	v_fmac_f32_e32 v39, v41, v37
	v_fma_f32 v36, -v36, v39, v38
	.loc	1 135 35                        ; layer_norm_aot.py:135:35
	s_waitcnt lgkmcnt(0)
	v_div_scale_f32 v38, s[4:5], v28, v28, v40
	v_rcp_f32_e32 v41, v38
	.loc	1 139 36                        ; layer_norm_aot.py:139:36
	s_and_b32 s21, s40, 0xffff
	.loc	1 134 43                        ; layer_norm_aot.py:134:43
	v_div_fmas_f32 v36, v36, v37, v39
	.loc	1 111 36                        ; layer_norm_aot.py:111:36
	s_add_u32 s28, s28, 1
	.loc	1 134 43                        ; layer_norm_aot.py:134:43
	v_div_fixup_f32 v35, v36, v28, v35
	.loc	1 135 35                        ; layer_norm_aot.py:135:35
	v_fma_f32 v36, -v38, v41, 1.0
	.loc	1 111 36                        ; layer_norm_aot.py:111:36
	s_addc_u32 s29, s29, 0
	.loc	1 135 35                        ; layer_norm_aot.py:135:35
	v_fmac_f32_e32 v41, v36, v41
	v_div_scale_f32 v36, vcc, v40, v28, v40
	.loc	1 111 36                        ; layer_norm_aot.py:111:36
	s_add_u32 s12, s12, s14
	.loc	1 135 35                        ; layer_norm_aot.py:135:35
	v_mul_f32_e32 v37, v36, v41
	.loc	1 111 36                        ; layer_norm_aot.py:111:36
	s_addc_u32 s13, s13, s15
	.loc	1 135 35                        ; layer_norm_aot.py:135:35
	v_fma_f32 v39, -v38, v37, v36
	.loc	1 111 36                        ; layer_norm_aot.py:111:36
	s_add_u32 s8, s8, s10
	.loc	1 135 35                        ; layer_norm_aot.py:135:35
	v_fmac_f32_e32 v37, v39, v41
	.loc	1 111 36                        ; layer_norm_aot.py:111:36
	s_addc_u32 s9, s9, s11
	.loc	1 135 35                        ; layer_norm_aot.py:135:35
	v_fma_f32 v36, -v38, v37, v36
	.loc	1 111 36                        ; layer_norm_aot.py:111:36
	s_add_u32 s33, s33, s34
	.loc	1 135 35                        ; layer_norm_aot.py:135:35
	v_div_fmas_f32 v36, v36, v41, v37
	.loc	1 111 36                        ; layer_norm_aot.py:111:36
	s_addc_u32 s38, s38, s35
	.loc	1 135 35                        ; layer_norm_aot.py:135:35
	v_div_fixup_f32 v36, v36, v28, v40
	.loc	1 139 36                        ; layer_norm_aot.py:139:36
	s_mov_b32 s20, s39
	.loc	1 111 36                        ; layer_norm_aot.py:111:36
	s_add_u32 s39, s39, s36
	.loc	1 136 34                        ; layer_norm_aot.py:136:34
	v_fma_f32 v37, v16, v35, v36
	.loc	1 111 36                        ; layer_norm_aot.py:111:36
	s_addc_u32 s40, s40, s37
	.loc	1 136 34                        ; layer_norm_aot.py:136:34
	v_fma_f32 v38, v17, v35, v36
	v_fma_f32 v39, v18, v35, v36
	v_fmac_f32_e32 v36, v19, v35
	.loc	1 136 21 is_stmt 0              ; layer_norm_aot.py:136:21
	v_sub_f32_e32 v31, v31, v37
	.loc	1 111 36 is_stmt 1              ; layer_norm_aot.py:111:36
	s_add_u32 s41, s41, s2
	v_cmp_lt_i64_e32 vcc, s[28:29], v[8:9]
	.loc	1 136 21                        ; layer_norm_aot.py:136:21
	v_sub_f32_e32 v32, v32, v38
	v_sub_f32_e32 v33, v33, v39
	;; [unrolled: 1-line block ×3, first 2 shown]
	.loc	1 136 41 is_stmt 0              ; layer_norm_aot.py:136:41
	v_mul_f32_e32 v31, v14, v31
	.loc	1 144 18 is_stmt 1              ; layer_norm_aot.py:144:18
	v_pk_fma_f32 v[6:7], v[10:11], v[16:17], v[6:7]
	v_pk_fma_f32 v[4:5], v[12:13], v[18:19], v[4:5]
	.loc	1 145 18                        ; layer_norm_aot.py:145:18
	v_pk_add_f32 v[2:3], v[2:3], v[10:11]
	v_pk_add_f32 v[0:1], v[0:1], v[12:13]
	.loc	1 111 36                        ; layer_norm_aot.py:111:36
	s_addc_u32 s42, s42, s3
	s_and_b64 vcc, exec, vcc
	.loc	1 136 41                        ; layer_norm_aot.py:136:41
	v_mul_f32_e32 v32, v14, v32
	v_mul_f32_e32 v33, v14, v33
	;; [unrolled: 1-line block ×3, first 2 shown]
	.loc	1 139 36                        ; layer_norm_aot.py:139:36
	buffer_store_dword v31, v15, s[20:23], 0 offen
	buffer_store_dword v32, v20, s[20:23], 0 offen
	;; [unrolled: 1-line block ×4, first 2 shown]
	.loc	1 111 36                        ; layer_norm_aot.py:111:36
	s_cbranch_vccz .LBB0_16
.LBB0_3:                                ; =>This Inner Loop Header: Depth=1
	.loc	1 120 20                        ; layer_norm_aot.py:120:20
	s_and_b32 s21, s42, 0xffff
	s_mov_b32 s20, s41
	.loc	1 122 23                        ; layer_norm_aot.py:122:23
	global_load_dword v32, v23, s[8:9]
	.loc	1 123 23                        ; layer_norm_aot.py:123:23
	global_load_dword v14, v23, s[12:13]
	.loc	1 120 20                        ; layer_norm_aot.py:120:20
	buffer_load_dword v16, v15, s[20:23], 0 offen
	buffer_load_dword v17, v20, s[20:23], 0 offen
	;; [unrolled: 1-line block ×4, first 2 shown]
                                        ; kill: killed $sgpr20_sgpr21
	.loc	1 121 21                        ; layer_norm_aot.py:121:21
	s_and_b32 s21, s38, 0xffff
	s_mov_b32 s20, s33
	buffer_load_dword v10, v15, s[20:23], 0 offen
	buffer_load_dword v11, v20, s[20:23], 0 offen
	;; [unrolled: 1-line block ×4, first 2 shown]
.Ltmp6:
	.loc	2 293 36                        ; standard.py:293:36 @[ layer_norm_aot.py:134:20 ]
	s_waitcnt lgkmcnt(0)
	s_barrier
.Ltmp7:
	.loc	1 132 25                        ; layer_norm_aot.py:132:25
	s_waitcnt vmcnt(6)
	v_pk_add_f32 v[16:17], v[16:17], v[32:33] op_sel_hi:[1,0] neg_lo:[0,1] neg_hi:[0,1]
	.loc	1 132 37 is_stmt 0              ; layer_norm_aot.py:132:37
	s_nop 0
	v_pk_mul_f32 v[16:17], v[16:17], v[14:15] op_sel_hi:[1,0]
	.loc	1 132 25                        ; layer_norm_aot.py:132:25
	s_waitcnt vmcnt(4)
	v_pk_add_f32 v[18:19], v[18:19], v[32:33] op_sel_hi:[1,0] neg_lo:[0,1] neg_hi:[0,1]
	.loc	1 133 22 is_stmt 1              ; layer_norm_aot.py:133:22
	s_waitcnt vmcnt(2)
	v_mul_f32_e32 v32, v25, v11
	v_mul_f32_e32 v31, v24, v10
	.loc	1 134 28                        ; layer_norm_aot.py:134:28
	v_mul_f32_e32 v35, v32, v17
	.loc	1 132 37                        ; layer_norm_aot.py:132:37
	v_pk_mul_f32 v[18:19], v[18:19], v[14:15] op_sel_hi:[1,0]
	.loc	1 133 22                        ; layer_norm_aot.py:133:22
	s_waitcnt vmcnt(1)
	v_mul_f32_e32 v33, v26, v12
.Ltmp8:
	.loc	2 263 15                        ; standard.py:263:15 @[ standard.py:293:36 @[ layer_norm_aot.py:134:20 ] ]
	v_fmac_f32_e32 v35, v31, v16
.Ltmp9:
	.loc	1 133 22                        ; layer_norm_aot.py:133:22
	s_waitcnt vmcnt(0)
	v_mul_f32_e32 v34, v27, v13
.Ltmp10:
	.loc	2 263 15                        ; standard.py:263:15 @[ standard.py:293:36 @[ layer_norm_aot.py:134:20 ] ]
	v_fmac_f32_e32 v35, v33, v18
	v_fmac_f32_e32 v35, v34, v19
	s_nop 1
	v_add_f32_dpp v35, v35, v35 row_shr:8 row_mask:0xf bank_mask:0xf bound_ctrl:1
	s_nop 1
	v_add_f32_dpp v35, v35, v35 row_shr:4 row_mask:0xf bank_mask:0xf bound_ctrl:1
	;; [unrolled: 2-line block ×4, first 2 shown]
.Ltmp11:
	.loc	2 293 36                        ; standard.py:293:36 @[ layer_norm_aot.py:134:20 ]
	v_mov_b32_e32 v36, v35
	s_nop 1
	v_mov_b32_dpp v36, v36 row_bcast:15 row_mask:0xa bank_mask:0xf bound_ctrl:1
.Ltmp12:
	.loc	2 263 15                        ; standard.py:263:15 @[ standard.py:293:36 @[ layer_norm_aot.py:134:20 ] ]
	v_add_f32_e32 v35, v36, v35
	s_nop 1
	v_add_f32_dpp v35, v35, v35 row_bcast:31 row_mask:0xf bank_mask:0xf bound_ctrl:1
.Ltmp13:
	.loc	2 293 36                        ; standard.py:293:36 @[ layer_norm_aot.py:134:20 ]
	s_nop 0
	v_readlane_b32 s20, v35, 63
	s_and_saveexec_b64 s[4:5], s[16:17]
; %bb.4:                                ;   in Loop: Header=BB0_3 Depth=1
	v_mov_b32_e32 v35, s19
	v_mov_b32_e32 v36, s20
	ds_write_b32 v35, v36
.Ltmp14:
; %bb.5:                                ;   in Loop: Header=BB0_3 Depth=1
	.loc	2 0 36 is_stmt 0                ; standard.py:0:36
	s_or_b64 exec, exec, s[4:5]
	.loc	1 134 20 is_stmt 1              ; layer_norm_aot.py:134:20
	v_mov_b32_e32 v35, 0
.Ltmp15:
	.loc	2 293 36                        ; standard.py:293:36 @[ layer_norm_aot.py:134:20 ]
	s_waitcnt lgkmcnt(0)
	s_barrier
	s_and_saveexec_b64 s[4:5], s[6:7]
; %bb.6:                                ;   in Loop: Header=BB0_3 Depth=1
	ds_read_b32 v35, v29
; %bb.7:                                ;   in Loop: Header=BB0_3 Depth=1
	.loc	2 0 36 is_stmt 0                ; standard.py:0:36
	s_or_b64 exec, exec, s[4:5]
	.loc	2 293 36                        ; standard.py:293:36 @[ layer_norm_aot.py:134:20 ]
	s_waitcnt lgkmcnt(0)
	v_mov_b32_e32 v36, v35
	s_nop 1
	v_mov_b32_dpp v36, v36 quad_perm:[2,3,0,1] row_mask:0xf bank_mask:0xf
.Ltmp16:
	.loc	2 263 15 is_stmt 1              ; standard.py:263:15 @[ standard.py:293:36 @[ layer_norm_aot.py:134:20 ] ]
	v_add_f32_e32 v35, v35, v36
.Ltmp17:
	.loc	2 293 36                        ; standard.py:293:36 @[ layer_norm_aot.py:134:20 ]
	v_mov_b32_e32 v36, v35
	s_nop 1
	v_mov_b32_dpp v36, v36 quad_perm:[1,0,3,2] row_mask:0xf bank_mask:0xf
	s_and_saveexec_b64 s[4:5], s[30:31]
; %bb.8:                                ;   in Loop: Header=BB0_3 Depth=1
	.loc	2 0 36 is_stmt 0                ; standard.py:0:36
	v_add_f32_e32 v35, v35, v36
	.loc	2 293 36                        ; standard.py:293:36 @[ layer_norm_aot.py:134:20 ]
	ds_write_b32 v29, v35
.Ltmp18:
; %bb.9:                                ;   in Loop: Header=BB0_3 Depth=1
	.loc	2 0 36                          ; standard.py:0:36
	s_or_b64 exec, exec, s[4:5]
.Ltmp19:
	.loc	2 263 15 is_stmt 1              ; standard.py:263:15 @[ standard.py:293:36 @[ layer_norm_aot.py:135:20 ] ]
	v_add_f32_e32 v36, v31, v32
	v_add_f32_e32 v36, v36, v33
	;; [unrolled: 1-line block ×3, first 2 shown]
.Ltmp20:
	.loc	2 293 36                        ; standard.py:293:36 @[ layer_norm_aot.py:134:20 ]
	s_waitcnt lgkmcnt(0)
	s_barrier
.Ltmp21:
	.loc	2 263 15                        ; standard.py:263:15 @[ standard.py:293:36 @[ layer_norm_aot.py:135:20 ] ]
	v_add_f32_dpp v36, v36, v36 row_shr:8 row_mask:0xf bank_mask:0xf bound_ctrl:1
.Ltmp22:
	.loc	2 293 36                        ; standard.py:293:36 @[ layer_norm_aot.py:134:20 ]
	ds_read_b32 v35, v30
.Ltmp23:
	.loc	2 293 36 is_stmt 0              ; standard.py:293:36 @[ layer_norm_aot.py:135:20 ]
	s_waitcnt lgkmcnt(0)
.Ltmp24:
	.loc	2 263 15 is_stmt 1              ; standard.py:263:15 @[ standard.py:293:36 @[ layer_norm_aot.py:135:20 ] ]
	v_add_f32_dpp v36, v36, v36 row_shr:4 row_mask:0xf bank_mask:0xf bound_ctrl:1
.Ltmp25:
	.loc	2 293 36                        ; standard.py:293:36 @[ layer_norm_aot.py:135:20 ]
	s_barrier
.Ltmp26:
	.loc	2 263 15                        ; standard.py:263:15 @[ standard.py:293:36 @[ layer_norm_aot.py:135:20 ] ]
	s_nop 0
	v_add_f32_dpp v36, v36, v36 row_shr:2 row_mask:0xf bank_mask:0xf bound_ctrl:1
	s_nop 1
	v_add_f32_dpp v36, v36, v36 row_shr:1 row_mask:0xf bank_mask:0xf bound_ctrl:1
.Ltmp27:
	.loc	2 293 36                        ; standard.py:293:36 @[ layer_norm_aot.py:135:20 ]
	v_mov_b32_e32 v37, v36
	s_nop 1
	v_mov_b32_dpp v37, v37 row_bcast:15 row_mask:0xa bank_mask:0xf bound_ctrl:1
.Ltmp28:
	.loc	2 263 15                        ; standard.py:263:15 @[ standard.py:293:36 @[ layer_norm_aot.py:135:20 ] ]
	v_add_f32_e32 v36, v36, v37
	s_nop 1
	v_add_f32_dpp v36, v36, v36 row_bcast:31 row_mask:0xf bank_mask:0xf bound_ctrl:1
.Ltmp29:
	.loc	2 293 36                        ; standard.py:293:36 @[ layer_norm_aot.py:135:20 ]
	s_nop 0
	v_readlane_b32 s20, v36, 63
	s_and_saveexec_b64 s[4:5], s[16:17]
; %bb.10:                               ;   in Loop: Header=BB0_3 Depth=1
	v_mov_b32_e32 v36, s19
	v_mov_b32_e32 v37, s20
	ds_write_b32 v36, v37
.Ltmp30:
; %bb.11:                               ;   in Loop: Header=BB0_3 Depth=1
	.loc	2 0 36 is_stmt 0                ; standard.py:0:36
	s_or_b64 exec, exec, s[4:5]
	.loc	1 135 20 is_stmt 1              ; layer_norm_aot.py:135:20
	v_mov_b32_e32 v36, 0
.Ltmp31:
	.loc	2 293 36                        ; standard.py:293:36 @[ layer_norm_aot.py:135:20 ]
	s_waitcnt lgkmcnt(0)
	s_barrier
	s_and_saveexec_b64 s[4:5], s[6:7]
; %bb.12:                               ;   in Loop: Header=BB0_3 Depth=1
	ds_read_b32 v36, v29
; %bb.13:                               ;   in Loop: Header=BB0_3 Depth=1
	.loc	2 0 36 is_stmt 0                ; standard.py:0:36
	s_or_b64 exec, exec, s[4:5]
	.loc	2 293 36                        ; standard.py:293:36 @[ layer_norm_aot.py:135:20 ]
	s_waitcnt lgkmcnt(0)
	v_mov_b32_e32 v37, v36
	s_nop 1
	v_mov_b32_dpp v37, v37 quad_perm:[2,3,0,1] row_mask:0xf bank_mask:0xf
.Ltmp32:
	.loc	2 263 15 is_stmt 1              ; standard.py:263:15 @[ standard.py:293:36 @[ layer_norm_aot.py:135:20 ] ]
	v_add_f32_e32 v36, v36, v37
.Ltmp33:
	.loc	2 293 36                        ; standard.py:293:36 @[ layer_norm_aot.py:135:20 ]
	v_mov_b32_e32 v37, v36
	s_nop 1
	v_mov_b32_dpp v37, v37 quad_perm:[1,0,3,2] row_mask:0xf bank_mask:0xf
	s_and_saveexec_b64 s[4:5], s[30:31]
	s_cbranch_execz .LBB0_2
; %bb.14:                               ;   in Loop: Header=BB0_3 Depth=1
	.loc	2 0 36 is_stmt 0                ; standard.py:0:36
	v_add_f32_e32 v36, v36, v37
	.loc	2 293 36                        ; standard.py:293:36 @[ layer_norm_aot.py:135:20 ]
	ds_write_b32 v29, v36
	s_branch .LBB0_2
.Ltmp34:
.LBB0_15:
	.loc	2 0 36                          ; standard.py:0:36
	v_mov_b32_e32 v7, 0
	v_mov_b32_e32 v6, v23
	;; [unrolled: 1-line block ×8, first 2 shown]
.LBB0_16:                               ; %Flow49
	s_load_dword s3, s[0:1], 0x50
	s_load_dword s2, s[0:1], 0x60
	s_mov_b32 s7, 0x27000
	s_mov_b32 s6, 0x7ffffffe
	.loc	1 147 37 is_stmt 1              ; layer_norm_aot.py:147:37
	s_waitcnt lgkmcnt(0)
	s_mul_hi_i32 s1, s3, s18
	s_mul_i32 s0, s3, s18
	.loc	1 147 22 is_stmt 0              ; layer_norm_aot.py:147:22
	s_lshl_b64 s[0:1], s[0:1], 2
	s_add_u32 s4, s26, s0
	s_addc_u32 s0, s27, s1
	.loc	1 147 55                        ; layer_norm_aot.py:147:55
	s_and_b32 s5, s0, 0xffff
	.loc	1 148 37 is_stmt 1              ; layer_norm_aot.py:148:37
	s_mul_hi_i32 s1, s2, s18
	s_mul_i32 s0, s2, s18
	.loc	1 148 22 is_stmt 0              ; layer_norm_aot.py:148:22
	s_lshl_b64 s[0:1], s[0:1], 2
	.loc	1 147 55 is_stmt 1              ; layer_norm_aot.py:147:55
	buffer_store_dword v6, v15, s[4:7], 0 offen
	buffer_store_dword v7, v20, s[4:7], 0 offen
	;; [unrolled: 1-line block ×4, first 2 shown]
	.loc	1 148 22                        ; layer_norm_aot.py:148:22
	s_add_u32 s4, s24, s0
	s_addc_u32 s0, s25, s1
	.loc	1 148 55 is_stmt 0              ; layer_norm_aot.py:148:55
	s_and_b32 s5, s0, 0xffff
	buffer_store_dword v2, v15, s[4:7], 0 offen
	buffer_store_dword v3, v20, s[4:7], 0 offen
	;; [unrolled: 1-line block ×4, first 2 shown]
	.loc	1 148 4                         ; layer_norm_aot.py:148:4
	s_endpgm
.Ltmp35:
	.section	.rodata,"a",@progbits
	.p2align	6, 0x0
	.amdhsa_kernel _layer_norm_backward_kernel
		.amdhsa_group_segment_fixed_size 0
		.amdhsa_private_segment_fixed_size 0
		.amdhsa_kernarg_size 144
		.amdhsa_user_sgpr_count 15
		.amdhsa_user_sgpr_dispatch_ptr 0
		.amdhsa_user_sgpr_queue_ptr 0
		.amdhsa_user_sgpr_kernarg_segment_ptr 1
		.amdhsa_user_sgpr_dispatch_id 0
		.amdhsa_user_sgpr_kernarg_preload_length 13
		.amdhsa_user_sgpr_kernarg_preload_offset 0
		.amdhsa_user_sgpr_private_segment_size 0
		.amdhsa_uses_dynamic_stack 0
		.amdhsa_enable_private_segment 0
		.amdhsa_system_sgpr_workgroup_id_x 1
		.amdhsa_system_sgpr_workgroup_id_y 0
		.amdhsa_system_sgpr_workgroup_id_z 0
		.amdhsa_system_sgpr_workgroup_info 0
		.amdhsa_system_vgpr_workitem_id 0
		.amdhsa_next_free_vgpr 42
		.amdhsa_next_free_sgpr 46
		.amdhsa_accum_offset 44
		.amdhsa_reserve_vcc 1
		.amdhsa_reserve_xnack_mask 1
		.amdhsa_float_round_mode_32 0
		.amdhsa_float_round_mode_16_64 0
		.amdhsa_float_denorm_mode_32 3
		.amdhsa_float_denorm_mode_16_64 3
		.amdhsa_dx10_clamp 1
		.amdhsa_ieee_mode 1
		.amdhsa_fp16_overflow 0
		.amdhsa_tg_split 0
		.amdhsa_exception_fp_ieee_invalid_op 0
		.amdhsa_exception_fp_denorm_src 0
		.amdhsa_exception_fp_ieee_div_zero 0
		.amdhsa_exception_fp_ieee_overflow 0
		.amdhsa_exception_fp_ieee_underflow 0
		.amdhsa_exception_fp_ieee_inexact 0
		.amdhsa_exception_int_div_zero 0
	.end_amdhsa_kernel
	.text
.Lfunc_end0:
	.size	_layer_norm_backward_kernel, .Lfunc_end0-_layer_norm_backward_kernel
	.cfi_endproc
                                        ; -- End function
	.set _layer_norm_backward_kernel.num_vgpr, 42
	.set _layer_norm_backward_kernel.num_agpr, 0
	.set _layer_norm_backward_kernel.numbered_sgpr, 46
	.set _layer_norm_backward_kernel.num_named_barrier, 0
	.set _layer_norm_backward_kernel.private_seg_size, 0
	.set _layer_norm_backward_kernel.uses_vcc, 1
	.set _layer_norm_backward_kernel.uses_flat_scratch, 0
	.set _layer_norm_backward_kernel.has_dyn_sized_stack, 0
	.set _layer_norm_backward_kernel.has_recursion, 0
	.set _layer_norm_backward_kernel.has_indirect_call, 0
	.section	.AMDGPU.csdata,"",@progbits
; Kernel info:
; codeLenInByte = 1976
; TotalNumSgprs: 52
; NumVgprs: 42
; NumAgprs: 0
; TotalNumVgprs: 42
; ScratchSize: 0
; MemoryBound: 0
; FloatMode: 240
; IeeeMode: 1
; LDSByteSize: 0 bytes/workgroup (compile time only)
; SGPRBlocks: 6
; VGPRBlocks: 5
; NumSGPRsForWavesPerEU: 52
; NumVGPRsForWavesPerEU: 42
; AccumOffset: 44
; Occupancy: 8
; WaveLimiterHint : 0
; COMPUTE_PGM_RSRC2:SCRATCH_EN: 0
; COMPUTE_PGM_RSRC2:USER_SGPR: 15
; COMPUTE_PGM_RSRC2:TRAP_HANDLER: 0
; COMPUTE_PGM_RSRC2:TGID_X_EN: 1
; COMPUTE_PGM_RSRC2:TGID_Y_EN: 0
; COMPUTE_PGM_RSRC2:TGID_Z_EN: 0
; COMPUTE_PGM_RSRC2:TIDIG_COMP_CNT: 0
; COMPUTE_PGM_RSRC3_GFX90A:ACCUM_OFFSET: 10
; COMPUTE_PGM_RSRC3_GFX90A:TG_SPLIT: 0
	.text
	.p2alignl 6, 3212836864
	.fill 256, 4, 3212836864
	.section	.AMDGPU.gpr_maximums,"",@progbits
	.set amdgpu.max_num_vgpr, 0
	.set amdgpu.max_num_agpr, 0
	.set amdgpu.max_num_sgpr, 0
	.set amdgpu.max_num_named_barrier, 0
	.text
	.section	.debug_abbrev,"",@progbits
	.byte	1                               ; Abbreviation Code
	.byte	17                              ; DW_TAG_compile_unit
	.byte	1                               ; DW_CHILDREN_yes
	.byte	37                              ; DW_AT_producer
	.byte	14                              ; DW_FORM_strp
	.byte	19                              ; DW_AT_language
	.byte	5                               ; DW_FORM_data2
	.byte	3                               ; DW_AT_name
	.byte	14                              ; DW_FORM_strp
	.byte	16                              ; DW_AT_stmt_list
	.byte	23                              ; DW_FORM_sec_offset
	.byte	27                              ; DW_AT_comp_dir
	.byte	14                              ; DW_FORM_strp
	.byte	17                              ; DW_AT_low_pc
	.byte	1                               ; DW_FORM_addr
	.byte	18                              ; DW_AT_high_pc
	.byte	6                               ; DW_FORM_data4
	.byte	0                               ; EOM(1)
	.byte	0                               ; EOM(2)
	.byte	2                               ; Abbreviation Code
	.byte	46                              ; DW_TAG_subprogram
	.byte	0                               ; DW_CHILDREN_no
	.byte	3                               ; DW_AT_name
	.byte	14                              ; DW_FORM_strp
	.byte	32                              ; DW_AT_inline
	.byte	11                              ; DW_FORM_data1
	.byte	0                               ; EOM(1)
	.byte	0                               ; EOM(2)
	.byte	3                               ; Abbreviation Code
	.byte	46                              ; DW_TAG_subprogram
	.byte	1                               ; DW_CHILDREN_yes
	.byte	17                              ; DW_AT_low_pc
	.byte	1                               ; DW_FORM_addr
	.byte	18                              ; DW_AT_high_pc
	.byte	6                               ; DW_FORM_data4
	.byte	49                              ; DW_AT_abstract_origin
	.byte	19                              ; DW_FORM_ref4
	.byte	0                               ; EOM(1)
	.byte	0                               ; EOM(2)
	.byte	4                               ; Abbreviation Code
	.byte	29                              ; DW_TAG_inlined_subroutine
	.byte	1                               ; DW_CHILDREN_yes
	.byte	49                              ; DW_AT_abstract_origin
	.byte	19                              ; DW_FORM_ref4
	.byte	85                              ; DW_AT_ranges
	.byte	23                              ; DW_FORM_sec_offset
	.byte	88                              ; DW_AT_call_file
	.byte	11                              ; DW_FORM_data1
	.byte	89                              ; DW_AT_call_line
	.byte	11                              ; DW_FORM_data1
	.byte	87                              ; DW_AT_call_column
	.byte	11                              ; DW_FORM_data1
	.byte	0                               ; EOM(1)
	.byte	0                               ; EOM(2)
	.byte	5                               ; Abbreviation Code
	.byte	29                              ; DW_TAG_inlined_subroutine
	.byte	0                               ; DW_CHILDREN_no
	.byte	49                              ; DW_AT_abstract_origin
	.byte	19                              ; DW_FORM_ref4
	.byte	85                              ; DW_AT_ranges
	.byte	23                              ; DW_FORM_sec_offset
	.byte	88                              ; DW_AT_call_file
	.byte	11                              ; DW_FORM_data1
	.byte	89                              ; DW_AT_call_line
	.byte	5                               ; DW_FORM_data2
	.byte	87                              ; DW_AT_call_column
	.byte	11                              ; DW_FORM_data1
	.byte	0                               ; EOM(1)
	.byte	0                               ; EOM(2)
	.byte	0                               ; EOM(3)
	.section	.debug_info,"",@progbits
.Lcu_begin0:
	.long	.Ldebug_info_end0-.Ldebug_info_start0 ; Length of Unit
.Ldebug_info_start0:
	.short	4                               ; DWARF version number
	.long	.debug_abbrev                   ; Offset Into Abbrev. Section
	.byte	8                               ; Address Size (in bytes)
	.byte	1                               ; Abbrev [1] 0xb:0x6c DW_TAG_compile_unit
	.long	.Linfo_string0                  ; DW_AT_producer
	.short	2                               ; DW_AT_language
	.long	.Linfo_string1                  ; DW_AT_name
	.long	.Lline_table_start0             ; DW_AT_stmt_list
	.long	.Linfo_string2                  ; DW_AT_comp_dir
	.quad	.Lfunc_begin0                   ; DW_AT_low_pc
	.long	.Lfunc_end0-.Lfunc_begin0       ; DW_AT_high_pc
	.byte	2                               ; Abbrev [2] 0x2a:0x6 DW_TAG_subprogram
	.long	.Linfo_string3                  ; DW_AT_name
	.byte	1                               ; DW_AT_inline
	.byte	3                               ; Abbrev [3] 0x30:0x46 DW_TAG_subprogram
	.quad	.Lfunc_begin0                   ; DW_AT_low_pc
	.long	.Lfunc_end0-.Lfunc_begin0       ; DW_AT_high_pc
	.long	42                              ; DW_AT_abstract_origin
	.byte	4                               ; Abbrev [4] 0x41:0x1a DW_TAG_inlined_subroutine
	.long	42                              ; DW_AT_abstract_origin
	.long	.Ldebug_ranges0                 ; DW_AT_ranges
	.byte	1                               ; DW_AT_call_file
	.byte	135                             ; DW_AT_call_line
	.byte	20                              ; DW_AT_call_column
	.byte	5                               ; Abbrev [5] 0x4d:0xd DW_TAG_inlined_subroutine
	.long	42                              ; DW_AT_abstract_origin
	.long	.Ldebug_ranges1                 ; DW_AT_ranges
	.byte	2                               ; DW_AT_call_file
	.short	293                             ; DW_AT_call_line
	.byte	36                              ; DW_AT_call_column
	.byte	0                               ; End Of Children Mark
	.byte	4                               ; Abbrev [4] 0x5b:0x1a DW_TAG_inlined_subroutine
	.long	42                              ; DW_AT_abstract_origin
	.long	.Ldebug_ranges2                 ; DW_AT_ranges
	.byte	1                               ; DW_AT_call_file
	.byte	134                             ; DW_AT_call_line
	.byte	20                              ; DW_AT_call_column
	.byte	5                               ; Abbrev [5] 0x67:0xd DW_TAG_inlined_subroutine
	.long	42                              ; DW_AT_abstract_origin
	.long	.Ldebug_ranges3                 ; DW_AT_ranges
	.byte	2                               ; DW_AT_call_file
	.short	293                             ; DW_AT_call_line
	.byte	36                              ; DW_AT_call_column
	.byte	0                               ; End Of Children Mark
	.byte	0                               ; End Of Children Mark
	;; [unrolled: 1-line block ×3, first 2 shown]
.Ldebug_info_end0:
	.section	.debug_ranges,"",@progbits
.Ldebug_ranges0:
	.quad	.Ltmp2-.Lfunc_begin0
	.quad	.Ltmp3-.Lfunc_begin0
	.quad	.Ltmp4-.Lfunc_begin0
	.quad	.Ltmp5-.Lfunc_begin0
	.quad	.Ltmp19-.Lfunc_begin0
	.quad	.Ltmp20-.Lfunc_begin0
	.quad	.Ltmp21-.Lfunc_begin0
	.quad	.Ltmp22-.Lfunc_begin0
	.quad	.Ltmp23-.Lfunc_begin0
	.quad	.Ltmp30-.Lfunc_begin0
	.quad	.Ltmp31-.Lfunc_begin0
	.quad	.Ltmp34-.Lfunc_begin0
	.quad	0
	.quad	0
.Ldebug_ranges1:
	.quad	.Ltmp19-.Lfunc_begin0
	.quad	.Ltmp20-.Lfunc_begin0
	;; [unrolled: 1-line block ×12, first 2 shown]
	.quad	0
	.quad	0
.Ldebug_ranges2:
	.quad	.Ltmp6-.Lfunc_begin0
	.quad	.Ltmp7-.Lfunc_begin0
	;; [unrolled: 1-line block ×12, first 2 shown]
	.quad	0
	.quad	0
.Ldebug_ranges3:
	.quad	.Ltmp8-.Lfunc_begin0
	.quad	.Ltmp9-.Lfunc_begin0
	;; [unrolled: 1-line block ×8, first 2 shown]
	.quad	0
	.quad	0
	.section	.debug_str,"MS",@progbits,1
.Linfo_string0:
	.asciz	"triton"                        ; string offset=0
.Linfo_string1:
	.asciz	"layer_norm_aot.py"             ; string offset=7
.Linfo_string2:
	.asciz	"/root/src/amdgpu-assembly/repos/linkedin__Liger-Kernel/triton_aot_kernels" ; string offset=25
.Linfo_string3:
	.asciz	"_layer_norm_backward_kernel"   ; string offset=99
	.section	".note.GNU-stack","",@progbits
	.amdgpu_metadata
---
amdhsa.kernels:
  - .agpr_count:     0
    .args:
      - .address_space:  global
        .offset:         0
        .size:           8
        .value_kind:     global_buffer
      - .offset:         8
        .size:           4
        .value_kind:     by_value
      - .address_space:  global
        .offset:         16
        .size:           8
        .value_kind:     global_buffer
      - .address_space:  global
        .offset:         24
        .size:           8
        .value_kind:     global_buffer
      - .offset:         32
        .size:           4
        .value_kind:     by_value
      - .address_space:  global
        .offset:         40
        .size:           8
        .value_kind:     global_buffer
      - .offset:         48
        .size:           4
        .value_kind:     by_value
      - .address_space:  global
        .offset:         56
        .size:           8
        .value_kind:     global_buffer
      - .offset:         64
        .size:           4
        .value_kind:     by_value
      - .address_space:  global
        .offset:         72
        .size:           8
        .value_kind:     global_buffer
      - .offset:         80
        .size:           4
        .value_kind:     by_value
      - .address_space:  global
        .offset:         88
        .size:           8
        .value_kind:     global_buffer
      - .offset:         96
        .size:           4
        .value_kind:     by_value
      - .address_space:  global
        .offset:         104
        .size:           8
        .value_kind:     global_buffer
      - .offset:         112
        .size:           4
        .value_kind:     by_value
      - .offset:         116
        .size:           4
        .value_kind:     by_value
      - .offset:         120
        .size:           4
        .value_kind:     by_value
      - .address_space:  global
        .offset:         128
        .size:           8
        .value_kind:     global_buffer
      - .address_space:  global
        .offset:         136
        .size:           8
        .value_kind:     global_buffer
    .group_segment_fixed_size: 0
    .kernarg_segment_align: 8
    .kernarg_segment_size: 144
    .max_flat_workgroup_size: 256
    .name:           _layer_norm_backward_kernel
    .private_segment_fixed_size: 0
    .sgpr_count:     52
    .sgpr_spill_count: 0
    .symbol:         _layer_norm_backward_kernel.kd
    .uniform_work_group_size: 1
    .uses_dynamic_stack: false
    .vgpr_count:     42
    .vgpr_spill_count: 0
    .wavefront_size: 64
amdhsa.target:   amdgcn-amd-amdhsa--gfx950
amdhsa.version:
  - 1
  - 2
...

	.end_amdgpu_metadata
	.section	.debug_line,"",@progbits
.Lline_table_start0:
